;; amdgpu-corpus repo=ROCm/rocFFT kind=compiled arch=gfx906 opt=O3
	.text
	.amdgcn_target "amdgcn-amd-amdhsa--gfx906"
	.amdhsa_code_object_version 6
	.protected	fft_rtc_fwd_len1620_factors_10_3_3_6_3_wgs_162_tpt_162_halfLds_dp_ip_CI_unitstride_sbrr_dirReg ; -- Begin function fft_rtc_fwd_len1620_factors_10_3_3_6_3_wgs_162_tpt_162_halfLds_dp_ip_CI_unitstride_sbrr_dirReg
	.globl	fft_rtc_fwd_len1620_factors_10_3_3_6_3_wgs_162_tpt_162_halfLds_dp_ip_CI_unitstride_sbrr_dirReg
	.p2align	8
	.type	fft_rtc_fwd_len1620_factors_10_3_3_6_3_wgs_162_tpt_162_halfLds_dp_ip_CI_unitstride_sbrr_dirReg,@function
fft_rtc_fwd_len1620_factors_10_3_3_6_3_wgs_162_tpt_162_halfLds_dp_ip_CI_unitstride_sbrr_dirReg: ; @fft_rtc_fwd_len1620_factors_10_3_3_6_3_wgs_162_tpt_162_halfLds_dp_ip_CI_unitstride_sbrr_dirReg
; %bb.0:
	s_load_dwordx2 s[12:13], s[4:5], 0x50
	s_load_dwordx4 s[8:11], s[4:5], 0x0
	s_load_dwordx2 s[2:3], s[4:5], 0x18
	v_mul_u32_u24_e32 v1, 0x195, v0
	v_add_u32_sdwa v5, s6, v1 dst_sel:DWORD dst_unused:UNUSED_PAD src0_sel:DWORD src1_sel:WORD_1
	v_mov_b32_e32 v3, 0
	s_waitcnt lgkmcnt(0)
	v_cmp_lt_u64_e64 s[0:1], s[10:11], 2
	v_mov_b32_e32 v1, 0
	v_mov_b32_e32 v6, v3
	s_and_b64 vcc, exec, s[0:1]
	v_mov_b32_e32 v2, 0
	s_cbranch_vccnz .LBB0_8
; %bb.1:
	s_load_dwordx2 s[0:1], s[4:5], 0x10
	s_add_u32 s6, s2, 8
	s_addc_u32 s7, s3, 0
	v_mov_b32_e32 v1, 0
	v_mov_b32_e32 v2, 0
	s_waitcnt lgkmcnt(0)
	s_add_u32 s14, s0, 8
	s_addc_u32 s15, s1, 0
	s_mov_b64 s[16:17], 1
.LBB0_2:                                ; =>This Inner Loop Header: Depth=1
	s_load_dwordx2 s[18:19], s[14:15], 0x0
                                        ; implicit-def: $vgpr7_vgpr8
	s_waitcnt lgkmcnt(0)
	v_or_b32_e32 v4, s19, v6
	v_cmp_ne_u64_e32 vcc, 0, v[3:4]
	s_and_saveexec_b64 s[0:1], vcc
	s_xor_b64 s[20:21], exec, s[0:1]
	s_cbranch_execz .LBB0_4
; %bb.3:                                ;   in Loop: Header=BB0_2 Depth=1
	v_cvt_f32_u32_e32 v4, s18
	v_cvt_f32_u32_e32 v7, s19
	s_sub_u32 s0, 0, s18
	s_subb_u32 s1, 0, s19
	v_mac_f32_e32 v4, 0x4f800000, v7
	v_rcp_f32_e32 v4, v4
	v_mul_f32_e32 v4, 0x5f7ffffc, v4
	v_mul_f32_e32 v7, 0x2f800000, v4
	v_trunc_f32_e32 v7, v7
	v_mac_f32_e32 v4, 0xcf800000, v7
	v_cvt_u32_f32_e32 v7, v7
	v_cvt_u32_f32_e32 v4, v4
	v_mul_lo_u32 v8, s0, v7
	v_mul_hi_u32 v9, s0, v4
	v_mul_lo_u32 v11, s1, v4
	v_mul_lo_u32 v10, s0, v4
	v_add_u32_e32 v8, v9, v8
	v_add_u32_e32 v8, v8, v11
	v_mul_hi_u32 v9, v4, v10
	v_mul_lo_u32 v11, v4, v8
	v_mul_hi_u32 v13, v4, v8
	v_mul_hi_u32 v12, v7, v10
	v_mul_lo_u32 v10, v7, v10
	v_mul_hi_u32 v14, v7, v8
	v_add_co_u32_e32 v9, vcc, v9, v11
	v_addc_co_u32_e32 v11, vcc, 0, v13, vcc
	v_mul_lo_u32 v8, v7, v8
	v_add_co_u32_e32 v9, vcc, v9, v10
	v_addc_co_u32_e32 v9, vcc, v11, v12, vcc
	v_addc_co_u32_e32 v10, vcc, 0, v14, vcc
	v_add_co_u32_e32 v8, vcc, v9, v8
	v_addc_co_u32_e32 v9, vcc, 0, v10, vcc
	v_add_co_u32_e32 v4, vcc, v4, v8
	v_addc_co_u32_e32 v7, vcc, v7, v9, vcc
	v_mul_lo_u32 v8, s0, v7
	v_mul_hi_u32 v9, s0, v4
	v_mul_lo_u32 v10, s1, v4
	v_mul_lo_u32 v11, s0, v4
	v_add_u32_e32 v8, v9, v8
	v_add_u32_e32 v8, v8, v10
	v_mul_lo_u32 v12, v4, v8
	v_mul_hi_u32 v13, v4, v11
	v_mul_hi_u32 v14, v4, v8
	;; [unrolled: 1-line block ×3, first 2 shown]
	v_mul_lo_u32 v11, v7, v11
	v_mul_hi_u32 v9, v7, v8
	v_add_co_u32_e32 v12, vcc, v13, v12
	v_addc_co_u32_e32 v13, vcc, 0, v14, vcc
	v_mul_lo_u32 v8, v7, v8
	v_add_co_u32_e32 v11, vcc, v12, v11
	v_addc_co_u32_e32 v10, vcc, v13, v10, vcc
	v_addc_co_u32_e32 v9, vcc, 0, v9, vcc
	v_add_co_u32_e32 v8, vcc, v10, v8
	v_addc_co_u32_e32 v9, vcc, 0, v9, vcc
	v_add_co_u32_e32 v4, vcc, v4, v8
	v_addc_co_u32_e32 v9, vcc, v7, v9, vcc
	v_mad_u64_u32 v[7:8], s[0:1], v5, v9, 0
	v_mul_hi_u32 v10, v5, v4
	v_add_co_u32_e32 v11, vcc, v10, v7
	v_addc_co_u32_e32 v12, vcc, 0, v8, vcc
	v_mad_u64_u32 v[7:8], s[0:1], v6, v4, 0
	v_mad_u64_u32 v[9:10], s[0:1], v6, v9, 0
	v_add_co_u32_e32 v4, vcc, v11, v7
	v_addc_co_u32_e32 v4, vcc, v12, v8, vcc
	v_addc_co_u32_e32 v7, vcc, 0, v10, vcc
	v_add_co_u32_e32 v4, vcc, v4, v9
	v_addc_co_u32_e32 v9, vcc, 0, v7, vcc
	v_mul_lo_u32 v10, s19, v4
	v_mul_lo_u32 v11, s18, v9
	v_mad_u64_u32 v[7:8], s[0:1], s18, v4, 0
	v_add3_u32 v8, v8, v11, v10
	v_sub_u32_e32 v10, v6, v8
	v_mov_b32_e32 v11, s19
	v_sub_co_u32_e32 v7, vcc, v5, v7
	v_subb_co_u32_e64 v10, s[0:1], v10, v11, vcc
	v_subrev_co_u32_e64 v11, s[0:1], s18, v7
	v_subbrev_co_u32_e64 v10, s[0:1], 0, v10, s[0:1]
	v_cmp_le_u32_e64 s[0:1], s19, v10
	v_cndmask_b32_e64 v12, 0, -1, s[0:1]
	v_cmp_le_u32_e64 s[0:1], s18, v11
	v_cndmask_b32_e64 v11, 0, -1, s[0:1]
	v_cmp_eq_u32_e64 s[0:1], s19, v10
	v_cndmask_b32_e64 v10, v12, v11, s[0:1]
	v_add_co_u32_e64 v11, s[0:1], 2, v4
	v_addc_co_u32_e64 v12, s[0:1], 0, v9, s[0:1]
	v_add_co_u32_e64 v13, s[0:1], 1, v4
	v_addc_co_u32_e64 v14, s[0:1], 0, v9, s[0:1]
	v_subb_co_u32_e32 v8, vcc, v6, v8, vcc
	v_cmp_ne_u32_e64 s[0:1], 0, v10
	v_cmp_le_u32_e32 vcc, s19, v8
	v_cndmask_b32_e64 v10, v14, v12, s[0:1]
	v_cndmask_b32_e64 v12, 0, -1, vcc
	v_cmp_le_u32_e32 vcc, s18, v7
	v_cndmask_b32_e64 v7, 0, -1, vcc
	v_cmp_eq_u32_e32 vcc, s19, v8
	v_cndmask_b32_e32 v7, v12, v7, vcc
	v_cmp_ne_u32_e32 vcc, 0, v7
	v_cndmask_b32_e64 v7, v13, v11, s[0:1]
	v_cndmask_b32_e32 v8, v9, v10, vcc
	v_cndmask_b32_e32 v7, v4, v7, vcc
.LBB0_4:                                ;   in Loop: Header=BB0_2 Depth=1
	s_andn2_saveexec_b64 s[0:1], s[20:21]
	s_cbranch_execz .LBB0_6
; %bb.5:                                ;   in Loop: Header=BB0_2 Depth=1
	v_cvt_f32_u32_e32 v4, s18
	s_sub_i32 s20, 0, s18
	v_rcp_iflag_f32_e32 v4, v4
	v_mul_f32_e32 v4, 0x4f7ffffe, v4
	v_cvt_u32_f32_e32 v4, v4
	v_mul_lo_u32 v7, s20, v4
	v_mul_hi_u32 v7, v4, v7
	v_add_u32_e32 v4, v4, v7
	v_mul_hi_u32 v4, v5, v4
	v_mul_lo_u32 v7, v4, s18
	v_add_u32_e32 v8, 1, v4
	v_sub_u32_e32 v7, v5, v7
	v_subrev_u32_e32 v9, s18, v7
	v_cmp_le_u32_e32 vcc, s18, v7
	v_cndmask_b32_e32 v7, v7, v9, vcc
	v_cndmask_b32_e32 v4, v4, v8, vcc
	v_add_u32_e32 v8, 1, v4
	v_cmp_le_u32_e32 vcc, s18, v7
	v_cndmask_b32_e32 v7, v4, v8, vcc
	v_mov_b32_e32 v8, v3
.LBB0_6:                                ;   in Loop: Header=BB0_2 Depth=1
	s_or_b64 exec, exec, s[0:1]
	v_mul_lo_u32 v4, v8, s18
	v_mul_lo_u32 v11, v7, s19
	v_mad_u64_u32 v[9:10], s[0:1], v7, s18, 0
	s_load_dwordx2 s[0:1], s[6:7], 0x0
	s_add_u32 s16, s16, 1
	v_add3_u32 v4, v10, v11, v4
	v_sub_co_u32_e32 v5, vcc, v5, v9
	v_subb_co_u32_e32 v4, vcc, v6, v4, vcc
	s_waitcnt lgkmcnt(0)
	v_mul_lo_u32 v4, s0, v4
	v_mul_lo_u32 v6, s1, v5
	v_mad_u64_u32 v[1:2], s[0:1], s0, v5, v[1:2]
	s_addc_u32 s17, s17, 0
	s_add_u32 s6, s6, 8
	v_add3_u32 v2, v6, v2, v4
	v_mov_b32_e32 v4, s10
	v_mov_b32_e32 v5, s11
	s_addc_u32 s7, s7, 0
	v_cmp_ge_u64_e32 vcc, s[16:17], v[4:5]
	s_add_u32 s14, s14, 8
	s_addc_u32 s15, s15, 0
	s_cbranch_vccnz .LBB0_9
; %bb.7:                                ;   in Loop: Header=BB0_2 Depth=1
	v_mov_b32_e32 v5, v7
	v_mov_b32_e32 v6, v8
	s_branch .LBB0_2
.LBB0_8:
	v_mov_b32_e32 v8, v6
	v_mov_b32_e32 v7, v5
.LBB0_9:
	s_lshl_b64 s[0:1], s[10:11], 3
	s_add_u32 s0, s2, s0
	s_addc_u32 s1, s3, s1
	s_load_dwordx2 s[2:3], s[0:1], 0x0
	s_load_dwordx2 s[6:7], s[4:5], 0x20
                                        ; implicit-def: $vgpr10_vgpr11
                                        ; implicit-def: $vgpr14_vgpr15
                                        ; implicit-def: $vgpr34_vgpr35
                                        ; implicit-def: $vgpr38_vgpr39
                                        ; implicit-def: $vgpr42_vgpr43
                                        ; implicit-def: $vgpr46_vgpr47
                                        ; implicit-def: $vgpr54_vgpr55
                                        ; implicit-def: $vgpr50_vgpr51
                                        ; implicit-def: $vgpr58_vgpr59
	s_waitcnt lgkmcnt(0)
	v_mad_u64_u32 v[1:2], s[0:1], s2, v7, v[1:2]
	v_mul_lo_u32 v3, s2, v8
	v_mul_lo_u32 v4, s3, v7
	s_mov_b32 s0, 0x1948b10
	v_mul_hi_u32 v5, v0, s0
	v_cmp_gt_u64_e32 vcc, s[6:7], v[7:8]
	v_add3_u32 v2, v4, v2, v3
	v_lshlrev_b64 v[62:63], 4, v[1:2]
	v_mul_u32_u24_e32 v3, 0xa2, v5
	v_sub_u32_e32 v60, v0, v3
                                        ; implicit-def: $vgpr6_vgpr7
	s_and_saveexec_b64 s[2:3], vcc
	s_cbranch_execz .LBB0_11
; %bb.10:
	v_mov_b32_e32 v61, 0
	v_mov_b32_e32 v0, s13
	v_add_co_u32_e64 v2, s[0:1], s12, v62
	v_addc_co_u32_e64 v3, s[0:1], v0, v63, s[0:1]
	v_lshlrev_b64 v[0:1], 4, v[60:61]
	v_add_co_u32_e64 v0, s[0:1], v2, v0
	v_addc_co_u32_e64 v1, s[0:1], v3, v1, s[0:1]
	s_movk_i32 s0, 0x1000
	v_add_co_u32_e64 v2, s[0:1], s0, v0
	v_addc_co_u32_e64 v3, s[0:1], 0, v1, s[0:1]
	s_movk_i32 s0, 0x2000
	;; [unrolled: 3-line block ×5, first 2 shown]
	v_add_co_u32_e64 v22, s[0:1], s0, v0
	v_addc_co_u32_e64 v23, s[0:1], 0, v1, s[0:1]
	global_load_dwordx4 v[56:59], v[0:1], off
	global_load_dwordx4 v[48:51], v[0:1], off offset:2592
	global_load_dwordx4 v[52:55], v[2:3], off offset:1088
	;; [unrolled: 1-line block ×9, first 2 shown]
.LBB0_11:
	s_or_b64 exec, exec, s[2:3]
	s_waitcnt vmcnt(3)
	v_add_f64 v[0:1], v[32:33], v[40:41]
	s_waitcnt vmcnt(1)
	v_add_f64 v[2:3], v[4:5], v[52:53]
	v_add_f64 v[16:17], v[52:53], -v[40:41]
	v_add_f64 v[18:19], v[4:5], -v[32:33]
	v_add_f64 v[20:21], v[40:41], -v[52:53]
	v_add_f64 v[22:23], v[32:33], -v[4:5]
	v_add_f64 v[24:25], v[54:55], -v[6:7]
	s_mov_b32 s4, 0x134454ff
	v_fma_f64 v[0:1], v[0:1], -0.5, v[56:57]
	s_mov_b32 s5, 0x3fee6f0e
	s_mov_b32 s3, 0xbfee6f0e
	;; [unrolled: 1-line block ×3, first 2 shown]
	v_add_f64 v[26:27], v[42:43], -v[34:35]
	v_fma_f64 v[2:3], v[2:3], -0.5, v[56:57]
	v_add_f64 v[16:17], v[18:19], v[16:17]
	v_add_f64 v[18:19], v[22:23], v[20:21]
	v_fma_f64 v[20:21], v[24:25], s[4:5], v[0:1]
	v_fma_f64 v[0:1], v[24:25], s[2:3], v[0:1]
	v_add_f64 v[28:29], v[12:13], v[36:37]
	s_mov_b32 s6, 0x4755a5e
	s_mov_b32 s7, 0x3fe2cf23
	;; [unrolled: 1-line block ×4, first 2 shown]
	v_fma_f64 v[22:23], v[26:27], s[2:3], v[2:3]
	v_fma_f64 v[2:3], v[26:27], s[4:5], v[2:3]
	v_fma_f64 v[20:21], v[26:27], s[6:7], v[20:21]
	v_fma_f64 v[0:1], v[26:27], s[10:11], v[0:1]
	s_waitcnt vmcnt(0)
	v_add_f64 v[26:27], v[8:9], v[44:45]
	v_add_f64 v[30:31], v[44:45], -v[36:37]
	v_fma_f64 v[28:29], v[28:29], -0.5, v[48:49]
	v_add_f64 v[64:65], v[46:47], -v[10:11]
	v_add_f64 v[66:67], v[8:9], -v[12:13]
	v_fma_f64 v[22:23], v[24:25], s[6:7], v[22:23]
	v_fma_f64 v[2:3], v[24:25], s[10:11], v[2:3]
	v_add_f64 v[70:71], v[36:37], -v[44:45]
	v_fma_f64 v[24:25], v[26:27], -0.5, v[48:49]
	v_add_f64 v[26:27], v[38:39], -v[14:15]
	v_add_f64 v[72:73], v[12:13], -v[8:9]
	v_fma_f64 v[68:69], v[64:65], s[4:5], v[28:29]
	v_add_f64 v[30:31], v[66:67], v[30:31]
	v_fma_f64 v[28:29], v[64:65], s[2:3], v[28:29]
	v_add_f64 v[66:67], v[14:15], v[38:39]
	v_add_f64 v[76:77], v[10:11], v[46:47]
	v_add_f64 v[78:79], v[10:11], -v[14:15]
	v_fma_f64 v[74:75], v[26:27], s[2:3], v[24:25]
	v_fma_f64 v[24:25], v[26:27], s[4:5], v[24:25]
	;; [unrolled: 1-line block ×3, first 2 shown]
	v_add_f64 v[72:73], v[72:73], v[70:71]
	v_fma_f64 v[26:27], v[26:27], s[10:11], v[28:29]
	v_fma_f64 v[28:29], v[66:67], -0.5, v[50:51]
	v_add_f64 v[66:67], v[44:45], -v[8:9]
	v_fma_f64 v[70:71], v[76:77], -0.5, v[50:51]
	v_add_f64 v[76:77], v[36:37], -v[12:13]
	v_fma_f64 v[74:75], v[64:65], s[6:7], v[74:75]
	v_fma_f64 v[24:25], v[64:65], s[10:11], v[24:25]
	v_add_f64 v[64:65], v[46:47], -v[38:39]
	v_add_f64 v[82:83], v[38:39], -v[46:47]
	;; [unrolled: 1-line block ×3, first 2 shown]
	v_fma_f64 v[80:81], v[66:67], s[2:3], v[28:29]
	v_fma_f64 v[28:29], v[66:67], s[4:5], v[28:29]
	v_add_f64 v[56:57], v[52:53], v[56:57]
	v_fma_f64 v[86:87], v[76:77], s[4:5], v[70:71]
	v_fma_f64 v[70:71], v[76:77], s[2:3], v[70:71]
	v_add_f64 v[44:45], v[44:45], v[48:49]
	v_add_f64 v[48:49], v[78:79], v[64:65]
	s_mov_b32 s14, 0x372fe950
	v_fma_f64 v[64:65], v[76:77], s[10:11], v[80:81]
	v_fma_f64 v[28:29], v[76:77], s[6:7], v[28:29]
	v_add_f64 v[76:77], v[84:85], v[82:83]
	v_add_f64 v[82:83], v[40:41], v[56:57]
	s_mov_b32 s15, 0x3fd3c6ef
	v_fma_f64 v[80:81], v[66:67], s[6:7], v[70:71]
	v_add_f64 v[44:45], v[36:37], v[44:45]
	v_fma_f64 v[70:71], v[30:31], s[14:15], v[68:69]
	v_fma_f64 v[78:79], v[66:67], s[10:11], v[86:87]
	;; [unrolled: 1-line block ×5, first 2 shown]
	v_add_f64 v[24:25], v[32:33], v[82:83]
	s_mov_b32 s16, 0x9b97f4a8
	s_mov_b32 s17, 0x3fe9e377
	v_fma_f64 v[64:65], v[48:49], s[14:15], v[64:65]
	v_fma_f64 v[66:67], v[48:49], s[14:15], v[28:29]
	v_add_f64 v[26:27], v[12:13], v[44:45]
	v_mul_f64 v[28:29], v[70:71], s[16:17]
	v_fma_f64 v[12:13], v[76:77], s[14:15], v[78:79]
	v_mul_f64 v[30:31], v[68:69], s[14:15]
	v_fma_f64 v[72:73], v[76:77], s[14:15], v[80:81]
	v_mul_f64 v[44:45], v[56:57], s[14:15]
	v_add_f64 v[48:49], v[4:5], v[24:25]
	v_mul_f64 v[24:25], v[36:37], s[16:17]
	v_fma_f64 v[20:21], v[16:17], s[14:15], v[20:21]
	v_add_f64 v[8:9], v[8:9], v[26:27]
	v_fma_f64 v[26:27], v[64:65], s[6:7], v[28:29]
	v_fma_f64 v[28:29], v[18:19], s[14:15], v[22:23]
	;; [unrolled: 1-line block ×4, first 2 shown]
	v_fma_f64 v[44:45], v[72:73], s[4:5], -v[44:45]
	v_fma_f64 v[74:75], v[16:17], s[14:15], v[0:1]
	v_fma_f64 v[76:77], v[66:67], s[6:7], -v[24:25]
	v_add_f64 v[16:17], v[8:9], v[48:49]
	v_add_f64 v[18:19], v[20:21], v[26:27]
	v_add_f64 v[20:21], v[20:21], -v[26:27]
	v_add_f64 v[24:25], v[28:29], v[30:31]
	v_add_f64 v[22:23], v[28:29], -v[30:31]
	;; [unrolled: 2-line block ×4, first 2 shown]
	v_add_f64 v[2:3], v[74:75], -v[76:77]
	v_mul_u32_u24_e32 v8, 10, v60
	v_lshl_add_u32 v8, v8, 3, 0
	s_movk_i32 s0, 0xffb8
	v_mad_i32_i24 v61, v60, s0, v8
	ds_write_b128 v8, v[16:19]
	ds_write_b128 v8, v[24:27] offset:16
	ds_write_b128 v8, v[28:31] offset:32
	;; [unrolled: 1-line block ×4, first 2 shown]
	s_waitcnt lgkmcnt(0)
	s_barrier
	v_add_u32_e32 v9, 0xa00, v61
	v_add_u32_e32 v75, 0x2000, v61
	;; [unrolled: 1-line block ×3, first 2 shown]
	ds_read_b64 v[0:1], v61 offset:11232
	ds_read2_b64 v[20:23], v61 offset1:162
	ds_read2_b64 v[16:19], v9 offset0:4 offset1:220
	ds_read2_b64 v[28:31], v75 offset0:56 offset1:218
	ds_read2_b64 v[24:27], v74 offset0:62 offset1:224
	v_cmp_gt_u32_e64 s[0:1], 54, v60
                                        ; implicit-def: $vgpr44_vgpr45
                                        ; implicit-def: $vgpr48_vgpr49
	s_and_saveexec_b64 s[18:19], s[0:1]
	s_cbranch_execz .LBB0_13
; %bb.12:
	ds_read_b64 v[2:3], v61 offset:3888
	ds_read_b64 v[48:49], v61 offset:8208
	ds_read_b64 v[44:45], v61 offset:12528
.LBB0_13:
	s_or_b64 exec, exec, s[18:19]
	v_add_f64 v[76:77], v[34:35], v[42:43]
	v_add_f64 v[78:79], v[6:7], v[54:55]
	v_add_f64 v[80:81], v[54:55], v[58:59]
	v_add_f64 v[4:5], v[52:53], -v[4:5]
	v_add_f64 v[46:47], v[46:47], v[50:51]
	v_add_f64 v[32:33], v[40:41], -v[32:33]
	v_add_f64 v[40:41], v[54:55], -v[42:43]
	;; [unrolled: 1-line block ×3, first 2 shown]
	v_fma_f64 v[76:77], v[76:77], -0.5, v[58:59]
	v_fma_f64 v[58:59], v[78:79], -0.5, v[58:59]
	v_add_f64 v[54:55], v[42:43], -v[54:55]
	v_mul_f64 v[50:51], v[70:71], s[10:11]
	v_add_f64 v[42:43], v[42:43], v[80:81]
	v_add_f64 v[38:39], v[38:39], v[46:47]
	v_add_f64 v[78:79], v[34:35], -v[6:7]
	v_add_f64 v[40:41], v[52:53], v[40:41]
	v_fma_f64 v[70:71], v[4:5], s[2:3], v[76:77]
	v_fma_f64 v[76:77], v[4:5], s[4:5], v[76:77]
	;; [unrolled: 1-line block ×4, first 2 shown]
	v_add_f64 v[34:35], v[34:35], v[42:43]
	v_add_f64 v[14:15], v[14:15], v[38:39]
	v_mul_f64 v[68:69], v[68:69], s[2:3]
	v_add_f64 v[46:47], v[78:79], v[54:55]
	v_fma_f64 v[42:43], v[32:33], s[10:11], v[70:71]
	v_fma_f64 v[32:33], v[32:33], s[6:7], v[76:77]
	;; [unrolled: 1-line block ×4, first 2 shown]
	v_mul_f64 v[38:39], v[72:73], s[14:15]
	v_mul_f64 v[54:55], v[66:67], s[16:17]
	v_add_f64 v[6:7], v[6:7], v[34:35]
	v_add_f64 v[14:15], v[10:11], v[14:15]
	v_fma_f64 v[42:43], v[40:41], s[14:15], v[42:43]
	v_fma_f64 v[58:59], v[40:41], s[14:15], v[32:33]
	;; [unrolled: 1-line block ×6, first 2 shown]
	v_fma_f64 v[50:51], v[56:57], s[2:3], -v[38:39]
	v_fma_f64 v[54:55], v[36:37], s[10:11], -v[54:55]
	v_add_f64 v[10:11], v[14:15], v[6:7]
	v_add_f64 v[38:39], v[6:7], -v[14:15]
	v_add_f64 v[12:13], v[42:43], v[40:41]
	v_add_f64 v[40:41], v[42:43], -v[40:41]
	s_waitcnt lgkmcnt(0)
	v_add_f64 v[32:33], v[52:53], v[46:47]
	v_add_f64 v[34:35], v[4:5], v[50:51]
	;; [unrolled: 1-line block ×3, first 2 shown]
	v_add_f64 v[42:43], v[52:53], -v[46:47]
	v_add_f64 v[4:5], v[4:5], -v[50:51]
	;; [unrolled: 1-line block ×3, first 2 shown]
	s_barrier
	ds_write_b128 v8, v[10:13]
	ds_write_b128 v8, v[32:35] offset:16
	ds_write_b128 v8, v[36:39] offset:32
	ds_write_b128 v8, v[40:43] offset:48
	ds_write_b128 v8, v[4:7] offset:64
	s_waitcnt lgkmcnt(0)
	s_barrier
	ds_read2_b64 v[12:15], v61 offset1:162
	ds_read2_b64 v[8:11], v9 offset0:4 offset1:220
	ds_read2_b64 v[36:39], v75 offset0:56 offset1:218
	;; [unrolled: 1-line block ×3, first 2 shown]
	ds_read_b64 v[4:5], v61 offset:11232
                                        ; implicit-def: $vgpr40_vgpr41
                                        ; implicit-def: $vgpr42_vgpr43
	s_and_saveexec_b64 s[2:3], s[0:1]
	s_cbranch_execz .LBB0_15
; %bb.14:
	ds_read_b64 v[6:7], v61 offset:3888
	ds_read_b64 v[42:43], v61 offset:8208
	;; [unrolled: 1-line block ×3, first 2 shown]
.LBB0_15:
	s_or_b64 exec, exec, s[2:3]
	s_movk_i32 s2, 0xcd
	v_mul_lo_u16_sdwa v46, v60, s2 dst_sel:DWORD dst_unused:UNUSED_PAD src0_sel:BYTE_0 src1_sel:DWORD
	v_lshrrev_b16_e32 v46, 11, v46
	v_mul_lo_u16_e32 v47, 10, v46
	v_sub_u16_e32 v47, v60, v47
	v_mov_b32_e32 v50, 5
	v_add_u32_e32 v78, 0xa2, v60
	v_lshlrev_b32_sdwa v58, v50, v47 dst_sel:DWORD dst_unused:UNUSED_PAD src0_sel:DWORD src1_sel:BYTE_0
	s_mov_b32 s2, 0xcccd
	global_load_dwordx4 v[50:53], v58, s[8:9] offset:16
	global_load_dwordx4 v[54:57], v58, s[8:9]
	v_mul_u32_u24_sdwa v58, v78, s2 dst_sel:DWORD dst_unused:UNUSED_PAD src0_sel:WORD_0 src1_sel:DWORD
	v_lshrrev_b32_e32 v58, 19, v58
	v_mul_lo_u16_e32 v59, 10, v58
	v_sub_u16_e32 v59, v78, v59
	v_add_u32_e32 v77, 0x144, v60
	v_lshlrev_b32_e32 v68, 5, v59
	global_load_dwordx4 v[79:82], v68, s[8:9] offset:16
	global_load_dwordx4 v[64:67], v68, s[8:9]
	v_mul_u32_u24_sdwa v68, v77, s2 dst_sel:DWORD dst_unused:UNUSED_PAD src0_sel:WORD_0 src1_sel:DWORD
	v_lshrrev_b32_e32 v68, 19, v68
	v_mul_lo_u16_e32 v69, 10, v68
	v_sub_u16_e32 v69, v77, v69
	v_add_u32_e32 v76, 0x1e6, v60
	v_lshlrev_b32_e32 v70, 5, v69
	global_load_dwordx4 v[83:86], v70, s[8:9] offset:16
	global_load_dwordx4 v[87:90], v70, s[8:9]
	v_mul_u32_u24_sdwa v70, v76, s2 dst_sel:DWORD dst_unused:UNUSED_PAD src0_sel:WORD_0 src1_sel:DWORD
	v_lshrrev_b32_e32 v70, 19, v70
	v_mul_lo_u16_e32 v71, 10, v70
	v_sub_u16_e32 v113, v76, v71
	v_lshlrev_b32_e32 v71, 5, v113
	global_load_dwordx4 v[91:94], v71, s[8:9]
	global_load_dwordx4 v[95:98], v71, s[8:9] offset:16
	v_mov_b32_e32 v71, 3
	v_mul_u32_u24_e32 v46, 0xf0, v46
	v_mul_u32_u24_e32 v58, 0xf0, v58
	v_lshlrev_b32_sdwa v47, v71, v47 dst_sel:DWORD dst_unused:UNUSED_PAD src0_sel:DWORD src1_sel:BYTE_0
	v_lshlrev_b32_e32 v59, 3, v59
	v_add3_u32 v75, 0, v46, v47
	v_add3_u32 v74, 0, v58, v59
	v_mul_u32_u24_e32 v68, 0xf0, v68
	v_lshlrev_b32_e32 v69, 3, v69
	v_mul_lo_u16_e32 v72, 30, v70
	v_add3_u32 v73, 0, v68, v69
	s_mov_b32 s2, 0xe8584caa
	s_mov_b32 s3, 0x3febb67a
	;; [unrolled: 1-line block ×4, first 2 shown]
	s_waitcnt vmcnt(0) lgkmcnt(0)
	s_barrier
	v_mul_f64 v[58:59], v[36:37], v[52:53]
	v_mul_f64 v[46:47], v[10:11], v[56:57]
	;; [unrolled: 1-line block ×8, first 2 shown]
	v_fma_f64 v[66:67], v[18:19], v[54:55], -v[46:47]
	v_fma_f64 v[70:71], v[10:11], v[54:55], v[56:57]
	v_fma_f64 v[68:69], v[28:29], v[50:51], -v[58:59]
	v_mul_f64 v[107:108], v[4:5], v[85:86]
	v_mul_f64 v[105:106], v[34:35], v[89:90]
	;; [unrolled: 1-line block ×4, first 2 shown]
	v_fma_f64 v[56:57], v[24:25], v[64:65], -v[99:100]
	v_fma_f64 v[58:59], v[30:31], v[79:80], -v[103:104]
	v_mul_f64 v[109:110], v[42:43], v[93:94]
	v_mul_f64 v[93:94], v[48:49], v[93:94]
	v_mul_f64 v[111:112], v[40:41], v[97:98]
	v_mul_f64 v[97:98], v[44:45], v[97:98]
	v_fma_f64 v[54:55], v[34:35], v[87:88], v[89:90]
	v_fma_f64 v[50:51], v[36:37], v[50:51], v[52:53]
	v_fma_f64 v[46:47], v[26:27], v[87:88], -v[105:106]
	v_fma_f64 v[52:53], v[0:1], v[83:84], -v[107:108]
	;; [unrolled: 1-line block ×3, first 2 shown]
	v_fma_f64 v[48:49], v[42:43], v[91:92], v[93:94]
	v_fma_f64 v[42:43], v[44:45], v[95:96], -v[111:112]
	v_fma_f64 v[64:65], v[32:33], v[64:65], v[101:102]
	v_fma_f64 v[10:11], v[38:39], v[79:80], v[81:82]
	;; [unrolled: 1-line block ×4, first 2 shown]
	v_add_f64 v[24:25], v[66:67], v[68:69]
	v_add_f64 v[30:31], v[56:57], v[58:59]
	;; [unrolled: 1-line block ×5, first 2 shown]
	v_add_f64 v[26:27], v[70:71], -v[50:51]
	v_add_f64 v[28:29], v[22:23], v[56:57]
	v_add_f64 v[36:37], v[64:65], -v[10:11]
	v_add_f64 v[32:33], v[16:17], v[46:47]
	v_add_f64 v[44:45], v[2:3], v[34:35]
	v_add_f64 v[81:82], v[48:49], -v[4:5]
	v_fma_f64 v[20:21], v[24:25], -0.5, v[20:21]
	v_fma_f64 v[22:23], v[30:31], -0.5, v[22:23]
	v_fma_f64 v[2:3], v[79:80], -0.5, v[2:3]
	v_add_f64 v[40:41], v[54:55], -v[0:1]
	v_fma_f64 v[16:17], v[38:39], -0.5, v[16:17]
	v_add_f64 v[18:19], v[18:19], v[68:69]
	v_add_f64 v[24:25], v[28:29], v[58:59]
	;; [unrolled: 1-line block ×4, first 2 shown]
	v_fma_f64 v[30:31], v[26:27], s[2:3], v[20:21]
	v_fma_f64 v[20:21], v[26:27], s[4:5], v[20:21]
	;; [unrolled: 1-line block ×8, first 2 shown]
	v_lshlrev_b32_e32 v2, 3, v113
	ds_write2_b64 v75, v[18:19], v[30:31] offset1:10
	ds_write_b64 v75, v[20:21] offset:160
	ds_write2_b64 v74, v[24:25], v[26:27] offset1:10
	ds_write_b64 v74, v[22:23] offset:160
	;; [unrolled: 2-line block ×3, first 2 shown]
	s_and_saveexec_b64 s[2:3], s[0:1]
	s_cbranch_execz .LBB0_17
; %bb.16:
	v_lshlrev_b32_e32 v3, 3, v72
	v_add3_u32 v3, 0, v2, v3
	ds_write2_b64 v3, v[32:33], v[36:37] offset1:10
	ds_write_b64 v3, v[38:39] offset:160
.LBB0_17:
	s_or_b64 exec, exec, s[2:3]
	v_add_u32_e32 v3, 0xa00, v61
	s_waitcnt lgkmcnt(0)
	s_barrier
	ds_read2_b64 v[20:23], v3 offset0:4 offset1:220
	v_add_u32_e32 v3, 0x2000, v61
	ds_read2_b64 v[28:31], v3 offset0:56 offset1:218
	v_add_u32_e32 v3, 0x1400, v61
	ds_read2_b64 v[16:19], v61 offset1:162
	ds_read2_b64 v[24:27], v3 offset0:62 offset1:224
	ds_read_b64 v[40:41], v61 offset:11232
	v_lshl_add_u32 v79, v60, 3, 0
	s_and_saveexec_b64 s[2:3], s[0:1]
	s_cbranch_execz .LBB0_19
; %bb.18:
	ds_read_b64 v[36:37], v61 offset:8208
	ds_read_b64 v[32:33], v79 offset:3888
	;; [unrolled: 1-line block ×3, first 2 shown]
.LBB0_19:
	s_or_b64 exec, exec, s[2:3]
	v_add_f64 v[44:45], v[70:71], v[50:51]
	v_add_f64 v[70:71], v[12:13], v[70:71]
	v_add_f64 v[66:67], v[66:67], -v[68:69]
	v_add_f64 v[68:69], v[64:65], v[10:11]
	v_add_f64 v[56:57], v[56:57], -v[58:59]
	;; [unrolled: 2-line block ×3, first 2 shown]
	v_add_f64 v[52:53], v[34:35], -v[42:43]
	v_fma_f64 v[12:13], v[44:45], -0.5, v[12:13]
	v_add_f64 v[44:45], v[14:15], v[64:65]
	v_add_f64 v[64:65], v[48:49], v[4:5]
	;; [unrolled: 1-line block ×3, first 2 shown]
	v_fma_f64 v[14:15], v[68:69], -0.5, v[14:15]
	v_add_f64 v[54:55], v[8:9], v[54:55]
	v_fma_f64 v[8:9], v[58:59], -0.5, v[8:9]
	s_mov_b32 s2, 0xe8584caa
	s_mov_b32 s3, 0xbfebb67a
	s_mov_b32 s5, 0x3febb67a
	v_fma_f64 v[6:7], v[64:65], -0.5, v[6:7]
	s_mov_b32 s4, s2
	v_add_f64 v[50:51], v[70:71], v[50:51]
	v_fma_f64 v[68:69], v[66:67], s[2:3], v[12:13]
	v_add_f64 v[10:11], v[44:45], v[10:11]
	v_add_f64 v[34:35], v[48:49], v[4:5]
	v_fma_f64 v[12:13], v[66:67], s[4:5], v[12:13]
	v_fma_f64 v[58:59], v[56:57], s[2:3], v[14:15]
	;; [unrolled: 1-line block ×5, first 2 shown]
	v_add_f64 v[0:1], v[54:55], v[0:1]
	v_fma_f64 v[54:55], v[46:47], s[2:3], v[8:9]
	v_fma_f64 v[8:9], v[46:47], s[4:5], v[8:9]
	s_waitcnt lgkmcnt(0)
	s_barrier
	ds_write2_b64 v75, v[50:51], v[68:69] offset1:10
	ds_write_b64 v75, v[12:13] offset:160
	ds_write2_b64 v74, v[10:11], v[58:59] offset1:10
	ds_write_b64 v74, v[14:15] offset:160
	;; [unrolled: 2-line block ×3, first 2 shown]
	s_and_saveexec_b64 s[2:3], s[0:1]
	s_cbranch_execz .LBB0_21
; %bb.20:
	v_lshlrev_b32_e32 v0, 3, v72
	v_add3_u32 v0, 0, v2, v0
	ds_write2_b64 v0, v[34:35], v[42:43] offset1:10
	ds_write_b64 v0, v[44:45] offset:160
.LBB0_21:
	s_or_b64 exec, exec, s[2:3]
	v_add_u32_e32 v8, 0x2000, v61
	s_waitcnt lgkmcnt(0)
	s_barrier
	v_add_u32_e32 v0, 0xa00, v61
	ds_read2_b64 v[12:15], v8 offset0:56 offset1:218
	v_add_u32_e32 v8, 0x1400, v61
	ds_read2_b64 v[4:7], v61 offset1:162
	ds_read2_b64 v[0:3], v0 offset0:4 offset1:220
	ds_read2_b64 v[8:11], v8 offset0:62 offset1:224
	ds_read_b64 v[46:47], v61 offset:11232
	s_and_saveexec_b64 s[2:3], s[0:1]
	s_cbranch_execz .LBB0_23
; %bb.22:
	ds_read_b64 v[42:43], v61 offset:8208
	ds_read_b64 v[34:35], v79 offset:3888
	;; [unrolled: 1-line block ×3, first 2 shown]
.LBB0_23:
	s_or_b64 exec, exec, s[2:3]
	s_movk_i32 s2, 0x89
	v_mul_lo_u16_sdwa v48, v60, s2 dst_sel:DWORD dst_unused:UNUSED_PAD src0_sel:BYTE_0 src1_sel:DWORD
	v_lshrrev_b16_e32 v56, 12, v48
	v_mul_lo_u16_e32 v48, 30, v56
	v_sub_u16_e32 v57, v60, v48
	v_mov_b32_e32 v48, 5
	v_lshlrev_b32_sdwa v58, v48, v57 dst_sel:DWORD dst_unused:UNUSED_PAD src0_sel:DWORD src1_sel:BYTE_0
	s_mov_b32 s2, 0x8889
	global_load_dwordx4 v[48:51], v58, s[8:9] offset:336
	global_load_dwordx4 v[52:55], v58, s[8:9] offset:320
	v_mul_u32_u24_sdwa v58, v78, s2 dst_sel:DWORD dst_unused:UNUSED_PAD src0_sel:WORD_0 src1_sel:DWORD
	v_lshrrev_b32_e32 v58, 20, v58
	v_mul_lo_u16_e32 v59, 30, v58
	v_sub_u16_e32 v59, v78, v59
	v_lshlrev_b32_e32 v68, 5, v59
	global_load_dwordx4 v[80:83], v68, s[8:9] offset:336
	global_load_dwordx4 v[64:67], v68, s[8:9] offset:320
	v_mul_u32_u24_sdwa v68, v77, s2 dst_sel:DWORD dst_unused:UNUSED_PAD src0_sel:WORD_0 src1_sel:DWORD
	v_lshrrev_b32_e32 v68, 20, v68
	v_mul_lo_u16_e32 v69, 30, v68
	v_sub_u16_e32 v69, v77, v69
	v_lshlrev_b32_e32 v70, 5, v69
	global_load_dwordx4 v[84:87], v70, s[8:9] offset:336
	global_load_dwordx4 v[88:91], v70, s[8:9] offset:320
	v_mul_u32_u24_sdwa v70, v76, s2 dst_sel:DWORD dst_unused:UNUSED_PAD src0_sel:WORD_0 src1_sel:DWORD
	v_lshrrev_b32_e32 v72, 20, v70
	v_mul_lo_u16_e32 v70, 30, v72
	v_sub_u16_e32 v114, v76, v70
	v_lshlrev_b32_e32 v70, 5, v114
	global_load_dwordx4 v[92:95], v70, s[8:9] offset:320
	global_load_dwordx4 v[96:99], v70, s[8:9] offset:336
	v_mov_b32_e32 v70, 3
	v_mul_u32_u24_e32 v56, 0x2d0, v56
	v_mul_u32_u24_e32 v58, 0x2d0, v58
	v_lshlrev_b32_sdwa v57, v70, v57 dst_sel:DWORD dst_unused:UNUSED_PAD src0_sel:DWORD src1_sel:BYTE_0
	v_lshlrev_b32_e32 v59, 3, v59
	v_add3_u32 v74, 0, v56, v57
	v_add3_u32 v73, 0, v58, v59
	v_mul_u32_u24_e32 v68, 0x2d0, v68
	v_lshlrev_b32_e32 v69, 3, v69
	v_add3_u32 v75, 0, v68, v69
	s_mov_b32 s2, 0xe8584caa
	s_mov_b32 s3, 0x3febb67a
	;; [unrolled: 1-line block ×4, first 2 shown]
	s_waitcnt vmcnt(0) lgkmcnt(0)
	s_barrier
	v_mul_f64 v[58:59], v[12:13], v[50:51]
	v_mul_f64 v[56:57], v[2:3], v[54:55]
	;; [unrolled: 1-line block ×8, first 2 shown]
	v_fma_f64 v[66:67], v[22:23], v[52:53], -v[56:57]
	v_fma_f64 v[70:71], v[2:3], v[52:53], v[54:55]
	v_mul_f64 v[108:109], v[46:47], v[86:87]
	v_mul_f64 v[106:107], v[10:11], v[90:91]
	;; [unrolled: 1-line block ×4, first 2 shown]
	v_fma_f64 v[68:69], v[28:29], v[48:49], -v[58:59]
	v_fma_f64 v[50:51], v[12:13], v[48:49], v[50:51]
	v_mul_f64 v[110:111], v[42:43], v[94:95]
	v_mul_f64 v[94:95], v[36:37], v[94:95]
	;; [unrolled: 1-line block ×4, first 2 shown]
	v_fma_f64 v[56:57], v[24:25], v[64:65], -v[100:101]
	v_fma_f64 v[58:59], v[30:31], v[80:81], -v[104:105]
	;; [unrolled: 1-line block ×4, first 2 shown]
	v_fma_f64 v[40:41], v[46:47], v[84:85], v[86:87]
	v_fma_f64 v[36:37], v[36:37], v[92:93], -v[110:111]
	v_fma_f64 v[46:47], v[42:43], v[92:93], v[94:95]
	v_fma_f64 v[42:43], v[38:39], v[96:97], -v[112:113]
	v_fma_f64 v[64:65], v[8:9], v[64:65], v[102:103]
	v_fma_f64 v[22:23], v[14:15], v[80:81], v[82:83]
	;; [unrolled: 1-line block ×4, first 2 shown]
	v_add_f64 v[8:9], v[66:67], v[68:69]
	v_add_f64 v[12:13], v[18:19], v[56:57]
	;; [unrolled: 1-line block ×6, first 2 shown]
	v_add_f64 v[10:11], v[70:71], -v[50:51]
	v_add_f64 v[24:25], v[64:65], -v[22:23]
	v_add_f64 v[26:27], v[20:21], v[48:49]
	v_add_f64 v[30:31], v[54:55], -v[40:41]
	v_add_f64 v[44:45], v[32:33], v[36:37]
	v_add_f64 v[82:83], v[46:47], -v[38:39]
	v_fma_f64 v[16:17], v[8:9], -0.5, v[16:17]
	v_fma_f64 v[14:15], v[14:15], -0.5, v[18:19]
	v_add_f64 v[18:19], v[12:13], v[58:59]
	v_fma_f64 v[12:13], v[28:29], -0.5, v[20:21]
	v_fma_f64 v[20:21], v[80:81], -0.5, v[32:33]
	v_add_f64 v[84:85], v[2:3], v[68:69]
	v_add_f64 v[2:3], v[26:27], v[52:53]
	;; [unrolled: 1-line block ×3, first 2 shown]
	v_fma_f64 v[26:27], v[10:11], s[2:3], v[16:17]
	v_fma_f64 v[28:29], v[10:11], s[4:5], v[16:17]
	;; [unrolled: 1-line block ×8, first 2 shown]
	v_lshlrev_b32_e32 v44, 3, v114
	ds_write2_b64 v74, v[84:85], v[26:27] offset1:30
	ds_write_b64 v74, v[28:29] offset:480
	ds_write2_b64 v73, v[18:19], v[32:33] offset1:30
	ds_write_b64 v73, v[24:25] offset:480
	;; [unrolled: 2-line block ×3, first 2 shown]
	s_and_saveexec_b64 s[2:3], s[0:1]
	s_cbranch_execz .LBB0_25
; %bb.24:
	v_mul_lo_u16_e32 v18, 0x5a, v72
	v_lshlrev_b32_e32 v18, 3, v18
	v_add3_u32 v18, 0, v44, v18
	ds_write2_b64 v18, v[8:9], v[12:13] offset1:30
	ds_write_b64 v18, v[10:11] offset:480
.LBB0_25:
	s_or_b64 exec, exec, s[2:3]
	s_waitcnt lgkmcnt(0)
	s_barrier
	ds_read_b64 v[20:21], v61
	ds_read_b64 v[32:33], v61 offset:2160
	ds_read_b64 v[30:31], v61 offset:4320
	;; [unrolled: 1-line block ×5, first 2 shown]
	s_movk_i32 s2, 0x6c
	v_cmp_gt_u32_e64 s[2:3], s2, v60
	s_and_saveexec_b64 s[4:5], s[2:3]
	s_cbranch_execz .LBB0_27
; %bb.26:
	ds_read_b64 v[2:3], v61 offset:1296
	ds_read_b64 v[16:17], v61 offset:3456
	;; [unrolled: 1-line block ×6, first 2 shown]
.LBB0_27:
	s_or_b64 exec, exec, s[4:5]
	v_add_f64 v[18:19], v[70:71], v[50:51]
	v_add_f64 v[70:71], v[4:5], v[70:71]
	v_add_f64 v[66:67], v[66:67], -v[68:69]
	v_add_f64 v[68:69], v[64:65], v[22:23]
	v_add_f64 v[56:57], v[56:57], -v[58:59]
	v_add_f64 v[58:59], v[54:55], v[40:41]
	s_mov_b32 s4, 0xe8584caa
	s_mov_b32 s5, 0xbfebb67a
	v_fma_f64 v[4:5], v[18:19], -0.5, v[4:5]
	v_add_f64 v[18:19], v[6:7], v[64:65]
	v_add_f64 v[64:65], v[46:47], v[38:39]
	s_mov_b32 s7, 0x3febb67a
	s_mov_b32 s6, s4
	v_fma_f64 v[6:7], v[68:69], -0.5, v[6:7]
	v_add_f64 v[48:49], v[48:49], -v[52:53]
	v_add_f64 v[45:46], v[34:35], v[46:47]
	v_fma_f64 v[68:69], v[66:67], s[4:5], v[4:5]
	v_fma_f64 v[66:67], v[66:67], s[6:7], v[4:5]
	v_add_f64 v[4:5], v[0:1], v[54:55]
	v_fma_f64 v[0:1], v[58:59], -0.5, v[0:1]
	v_fma_f64 v[52:53], v[64:65], -0.5, v[34:35]
	v_add_f64 v[42:43], v[36:37], -v[42:43]
	v_add_f64 v[50:51], v[70:71], v[50:51]
	v_add_f64 v[22:23], v[18:19], v[22:23]
	v_fma_f64 v[54:55], v[56:57], s[4:5], v[6:7]
	v_fma_f64 v[56:57], v[56:57], s[6:7], v[6:7]
	v_add_f64 v[18:19], v[4:5], v[40:41]
	v_fma_f64 v[36:37], v[48:49], s[4:5], v[0:1]
	v_fma_f64 v[34:35], v[48:49], s[6:7], v[0:1]
	;; [unrolled: 3-line block ×3, first 2 shown]
	s_waitcnt lgkmcnt(0)
	s_barrier
	ds_write2_b64 v74, v[50:51], v[68:69] offset1:30
	ds_write_b64 v74, v[66:67] offset:480
	ds_write2_b64 v73, v[22:23], v[54:55] offset1:30
	ds_write_b64 v73, v[56:57] offset:480
	;; [unrolled: 2-line block ×3, first 2 shown]
	s_and_saveexec_b64 s[4:5], s[0:1]
	s_cbranch_execz .LBB0_29
; %bb.28:
	v_mul_lo_u16_e32 v22, 0x5a, v72
	v_lshlrev_b32_e32 v22, 3, v22
	v_add3_u32 v22, 0, v44, v22
	ds_write2_b64 v22, v[6:7], v[4:5] offset1:30
	ds_write_b64 v22, v[0:1] offset:480
.LBB0_29:
	s_or_b64 exec, exec, s[4:5]
	s_waitcnt lgkmcnt(0)
	s_barrier
	ds_read_b64 v[22:23], v61
	ds_read_b64 v[46:47], v61 offset:2160
	ds_read_b64 v[44:45], v61 offset:4320
	;; [unrolled: 1-line block ×5, first 2 shown]
	s_and_saveexec_b64 s[4:5], s[2:3]
	s_cbranch_execz .LBB0_31
; %bb.30:
	ds_read_b64 v[18:19], v61 offset:1296
	ds_read_b64 v[36:37], v61 offset:3456
	;; [unrolled: 1-line block ×6, first 2 shown]
.LBB0_31:
	s_or_b64 exec, exec, s[4:5]
	s_movk_i32 s4, 0x2d83
	v_mul_u32_u24_sdwa v48, v78, s4 dst_sel:DWORD dst_unused:UNUSED_PAD src0_sel:WORD_0 src1_sel:DWORD
	s_movk_i32 s4, 0x5a
	v_lshrrev_b32_e32 v80, 20, v48
	v_add_u32_e32 v48, 0xffffffa6, v60
	v_cmp_gt_u32_e64 s[4:5], s4, v60
	v_cndmask_b32_e64 v66, v48, v60, s[4:5]
	v_mov_b32_e32 v49, 0
	v_mul_i32_i24_e32 v48, 5, v66
	v_lshlrev_b64 v[48:49], 4, v[48:49]
	v_mov_b32_e32 v50, s9
	v_add_co_u32_e64 v64, s[4:5], s8, v48
	v_addc_co_u32_e64 v65, s[4:5], v50, v49, s[4:5]
	global_load_dwordx4 v[48:51], v[64:65], off offset:1280
	global_load_dwordx4 v[52:55], v[64:65], off offset:1296
	v_mul_lo_u16_e32 v56, 0x5a, v80
	v_sub_u16_e32 v118, v78, v56
	v_mul_u32_u24_e32 v67, 5, v118
	v_lshlrev_b32_e32 v67, 4, v67
	global_load_dwordx4 v[56:59], v[64:65], off offset:1312
	global_load_dwordx4 v[68:71], v[64:65], off offset:1328
	global_load_dwordx4 v[72:75], v67, s[8:9] offset:1280
	global_load_dwordx4 v[82:85], v67, s[8:9] offset:1296
	;; [unrolled: 1-line block ×5, first 2 shown]
	global_load_dwordx4 v[98:101], v[64:65], off offset:1344
	s_movk_i32 s4, 0x59
	v_mov_b32_e32 v64, 0x10e0
	v_cmp_lt_u32_e64 s[4:5], s4, v60
	v_cndmask_b32_e64 v64, 0, v64, s[4:5]
	v_lshlrev_b32_e32 v65, 3, v66
	v_add3_u32 v81, 0, v64, v65
	s_mov_b32 s6, 0xe8584caa
	s_mov_b32 s7, 0x3febb67a
	;; [unrolled: 1-line block ×4, first 2 shown]
	v_add_u32_e32 v119, 0x400, v81
	v_add_u32_e32 v120, 0x800, v81
	s_waitcnt vmcnt(0) lgkmcnt(0)
	s_barrier
	v_mul_f64 v[64:65], v[46:47], v[50:51]
	v_mul_f64 v[50:51], v[32:33], v[50:51]
	;; [unrolled: 1-line block ×9, first 2 shown]
	v_fma_f64 v[50:51], v[46:47], v[48:49], v[50:51]
	v_mul_f64 v[46:47], v[10:11], v[96:97]
	v_mul_f64 v[96:97], v[38:39], v[100:101]
	;; [unrolled: 1-line block ×9, first 2 shown]
	v_fma_f64 v[32:33], v[32:33], v[48:49], -v[64:65]
	v_fma_f64 v[58:59], v[30:31], v[52:53], -v[66:67]
	v_fma_f64 v[64:65], v[44:45], v[52:53], v[54:55]
	v_fma_f64 v[54:55], v[28:29], v[56:57], -v[102:103]
	v_fma_f64 v[52:53], v[42:43], v[56:57], v[104:105]
	v_fma_f64 v[56:57], v[16:17], v[72:73], -v[108:109]
	v_fma_f64 v[16:17], v[0:1], v[94:95], v[46:47]
	v_fma_f64 v[0:1], v[24:25], v[98:99], -v[96:97]
	v_fma_f64 v[24:25], v[38:39], v[98:99], v[100:101]
	v_fma_f64 v[66:67], v[26:27], v[68:69], -v[106:107]
	v_fma_f64 v[8:9], v[8:9], v[86:87], -v[112:113]
	v_fma_f64 v[30:31], v[6:7], v[86:87], v[88:89]
	v_fma_f64 v[26:27], v[4:5], v[90:91], v[92:93]
	v_fma_f64 v[4:5], v[10:11], v[94:95], -v[116:117]
	v_mul_f64 v[110:111], v[34:35], v[84:85]
	v_mul_f64 v[84:85], v[14:15], v[84:85]
	v_fma_f64 v[44:45], v[40:41], v[68:69], v[70:71]
	v_add_f64 v[70:71], v[52:53], v[24:25]
	v_fma_f64 v[28:29], v[36:37], v[72:73], v[74:75]
	v_add_f64 v[6:7], v[20:21], v[58:59]
	v_add_f64 v[68:69], v[30:31], v[16:17]
	;; [unrolled: 1-line block ×4, first 2 shown]
	v_fma_f64 v[40:41], v[14:15], v[82:83], -v[110:111]
	v_fma_f64 v[48:49], v[34:35], v[82:83], v[84:85]
	v_add_f64 v[82:83], v[54:55], -v[0:1]
	v_fma_f64 v[70:71], v[70:71], -0.5, v[50:51]
	v_fma_f64 v[42:43], v[12:13], v[90:91], -v[114:115]
	v_add_f64 v[10:11], v[58:59], v[66:67]
	v_add_f64 v[14:15], v[32:33], v[54:55]
	;; [unrolled: 1-line block ×3, first 2 shown]
	v_add_f64 v[72:73], v[30:31], -v[16:17]
	v_add_f64 v[8:9], v[8:9], -v[4:5]
	;; [unrolled: 1-line block ×3, first 2 shown]
	v_fma_f64 v[32:33], v[74:75], -0.5, v[32:33]
	v_add_f64 v[88:89], v[6:7], v[66:67]
	v_fma_f64 v[6:7], v[68:69], -0.5, v[28:29]
	v_fma_f64 v[46:47], v[46:47], -0.5, v[56:57]
	v_fma_f64 v[54:55], v[82:83], s[10:11], v[70:71]
	v_add_f64 v[34:35], v[40:41], v[42:43]
	v_fma_f64 v[10:11], v[10:11], -0.5, v[20:21]
	v_add_f64 v[14:15], v[14:15], v[0:1]
	v_add_f64 v[0:1], v[38:39], v[4:5]
	v_fma_f64 v[56:57], v[84:85], s[10:11], v[32:33]
	v_fma_f64 v[38:39], v[8:9], s[10:11], v[6:7]
	;; [unrolled: 1-line block ×3, first 2 shown]
	v_add_f64 v[12:13], v[64:65], -v[44:45]
	v_add_f64 v[86:87], v[2:3], v[40:41]
	v_fma_f64 v[68:69], v[72:73], s[6:7], v[46:47]
	v_fma_f64 v[72:73], v[84:85], s[6:7], v[32:33]
	v_mul_f64 v[4:5], v[54:55], s[6:7]
	v_add_f64 v[36:37], v[48:49], -v[26:27]
	v_fma_f64 v[34:35], v[34:35], -0.5, v[2:3]
	v_fma_f64 v[74:75], v[82:83], s[6:7], v[70:71]
	v_mul_f64 v[32:33], v[56:57], -0.5
	v_fma_f64 v[70:71], v[8:9], s[6:7], v[6:7]
	v_mul_f64 v[8:9], v[38:39], s[6:7]
	v_mul_f64 v[46:47], v[20:21], -0.5
	v_add_f64 v[2:3], v[86:87], v[42:43]
	v_fma_f64 v[86:87], v[12:13], s[6:7], v[10:11]
	v_fma_f64 v[84:85], v[72:73], 0.5, v[4:5]
	v_fma_f64 v[12:13], v[12:13], s[10:11], v[10:11]
	v_fma_f64 v[4:5], v[36:37], s[6:7], v[34:35]
	;; [unrolled: 1-line block ×4, first 2 shown]
	v_fma_f64 v[10:11], v[68:69], 0.5, v[8:9]
	v_fma_f64 v[8:9], v[70:71], s[6:7], v[46:47]
	v_add_f64 v[82:83], v[88:89], v[14:15]
	v_add_f64 v[46:47], v[86:87], v[84:85]
	v_add_f64 v[14:15], v[88:89], -v[14:15]
	v_add_f64 v[32:33], v[2:3], -v[0:1]
	;; [unrolled: 1-line block ×3, first 2 shown]
	v_add_f64 v[86:87], v[12:13], v[90:91]
	v_add_f64 v[34:35], v[4:5], -v[10:11]
	v_add_f64 v[36:37], v[6:7], -v[8:9]
	;; [unrolled: 1-line block ×3, first 2 shown]
	ds_write2_b64 v81, v[82:83], v[46:47] offset1:90
	ds_write2_b64 v119, v[86:87], v[14:15] offset0:52 offset1:142
	ds_write2_b64 v120, v[84:85], v[12:13] offset0:104 offset1:194
	v_lshlrev_b32_e32 v82, 3, v118
	s_and_saveexec_b64 s[4:5], s[2:3]
	s_cbranch_execz .LBB0_33
; %bb.32:
	v_add_f64 v[4:5], v[4:5], v[10:11]
	v_add_f64 v[0:1], v[2:3], v[0:1]
	v_add_f64 v[2:3], v[6:7], v[8:9]
	v_mul_lo_u16_e32 v6, 0x21c, v80
	v_lshlrev_b32_e32 v6, 3, v6
	v_add3_u32 v6, 0, v82, v6
	v_add_u32_e32 v7, 0x400, v6
	ds_write2_b64 v6, v[0:1], v[4:5] offset1:90
	ds_write2_b64 v7, v[2:3], v[32:33] offset0:52 offset1:142
	v_add_u32_e32 v0, 0x800, v6
	ds_write2_b64 v0, v[34:35], v[36:37] offset0:104 offset1:194
.LBB0_33:
	s_or_b64 exec, exec, s[4:5]
	v_add_u32_e32 v4, 0xa00, v61
	v_add_u32_e32 v8, 0x2000, v61
	;; [unrolled: 1-line block ×3, first 2 shown]
	s_waitcnt lgkmcnt(0)
	s_barrier
	ds_read2_b64 v[0:3], v61 offset1:162
	ds_read2_b64 v[4:7], v4 offset0:4 offset1:220
	ds_read2_b64 v[8:11], v8 offset0:56 offset1:218
	;; [unrolled: 1-line block ×3, first 2 shown]
	ds_read_b64 v[46:47], v61 offset:11232
	s_and_saveexec_b64 s[4:5], s[0:1]
	s_cbranch_execz .LBB0_35
; %bb.34:
	ds_read_b64 v[34:35], v61 offset:8208
	ds_read_b64 v[32:33], v79 offset:3888
	;; [unrolled: 1-line block ×3, first 2 shown]
.LBB0_35:
	s_or_b64 exec, exec, s[4:5]
	v_add_f64 v[83:84], v[64:65], v[44:45]
	v_add_f64 v[50:51], v[50:51], v[52:53]
	v_add_f64 v[58:59], v[58:59], -v[66:67]
	v_add_f64 v[66:67], v[48:49], v[26:27]
	s_mov_b32 s4, 0xe8584caa
	s_mov_b32 s5, 0xbfebb67a
	v_add_f64 v[64:65], v[22:23], v[64:65]
	v_mul_f64 v[52:53], v[74:75], -0.5
	v_fma_f64 v[22:23], v[83:84], -0.5, v[22:23]
	v_add_f64 v[50:51], v[50:51], v[24:25]
	v_add_f64 v[24:25], v[18:19], v[48:49]
	v_mul_f64 v[48:49], v[72:73], s[4:5]
	v_fma_f64 v[66:67], v[66:67], -0.5, v[18:19]
	v_add_f64 v[40:41], v[40:41], -v[42:43]
	v_add_f64 v[28:29], v[28:29], v[30:31]
	v_mul_f64 v[30:31], v[68:69], s[4:5]
	v_mul_f64 v[42:43], v[70:71], -0.5
	s_mov_b32 s7, 0x3febb67a
	v_add_f64 v[44:45], v[64:65], v[44:45]
	s_mov_b32 s6, s4
	v_fma_f64 v[64:65], v[58:59], s[4:5], v[22:23]
	v_fma_f64 v[48:49], v[54:55], 0.5, v[48:49]
	v_fma_f64 v[58:59], v[58:59], s[6:7], v[22:23]
	v_fma_f64 v[52:53], v[56:57], s[4:5], v[52:53]
	v_add_f64 v[18:19], v[24:25], v[26:27]
	v_fma_f64 v[22:23], v[40:41], s[4:5], v[66:67]
	v_fma_f64 v[24:25], v[40:41], s[6:7], v[66:67]
	v_add_f64 v[16:17], v[28:29], v[16:17]
	v_fma_f64 v[26:27], v[38:39], 0.5, v[30:31]
	v_fma_f64 v[20:21], v[20:21], s[4:5], v[42:43]
	v_add_f64 v[72:73], v[44:45], v[50:51]
	v_add_f64 v[28:29], v[64:65], v[48:49]
	;; [unrolled: 1-line block ×3, first 2 shown]
	v_add_f64 v[44:45], v[44:45], -v[50:51]
	v_add_f64 v[48:49], v[64:65], -v[48:49]
	;; [unrolled: 1-line block ×6, first 2 shown]
	s_waitcnt lgkmcnt(0)
	s_barrier
	ds_write2_b64 v81, v[72:73], v[28:29] offset1:90
	v_add_u32_e32 v28, 0x400, v81
	ds_write2_b64 v28, v[30:31], v[44:45] offset0:52 offset1:142
	v_add_u32_e32 v28, 0x800, v81
	ds_write2_b64 v28, v[48:49], v[50:51] offset0:104 offset1:194
	s_and_saveexec_b64 s[4:5], s[2:3]
	s_cbranch_execz .LBB0_37
; %bb.36:
	v_add_f64 v[16:17], v[18:19], v[16:17]
	v_add_f64 v[18:19], v[22:23], v[26:27]
	;; [unrolled: 1-line block ×3, first 2 shown]
	v_mul_lo_u16_e32 v22, 0x21c, v80
	v_lshlrev_b32_e32 v22, 3, v22
	v_add3_u32 v22, 0, v82, v22
	v_add_u32_e32 v23, 0x400, v22
	ds_write2_b64 v22, v[16:17], v[18:19] offset1:90
	ds_write2_b64 v23, v[20:21], v[38:39] offset0:52 offset1:142
	v_add_u32_e32 v16, 0x800, v22
	ds_write2_b64 v16, v[40:41], v[42:43] offset0:104 offset1:194
.LBB0_37:
	s_or_b64 exec, exec, s[4:5]
	v_add_u32_e32 v20, 0xa00, v61
	v_add_u32_e32 v24, 0x2000, v61
	;; [unrolled: 1-line block ×3, first 2 shown]
	s_waitcnt lgkmcnt(0)
	s_barrier
	ds_read2_b64 v[16:19], v61 offset1:162
	ds_read2_b64 v[20:23], v20 offset0:4 offset1:220
	ds_read2_b64 v[24:27], v24 offset0:56 offset1:218
	;; [unrolled: 1-line block ×3, first 2 shown]
	ds_read_b64 v[48:49], v61 offset:11232
	s_and_saveexec_b64 s[2:3], s[0:1]
	s_cbranch_execz .LBB0_39
; %bb.38:
	ds_read_b64 v[40:41], v61 offset:8208
	ds_read_b64 v[38:39], v79 offset:3888
	;; [unrolled: 1-line block ×3, first 2 shown]
.LBB0_39:
	s_or_b64 exec, exec, s[2:3]
	s_and_saveexec_b64 s[2:3], vcc
	s_cbranch_execz .LBB0_42
; %bb.40:
	v_lshlrev_b32_e32 v44, 1, v77
	v_mov_b32_e32 v45, 0
	v_lshlrev_b64 v[50:51], 4, v[44:45]
	v_mov_b32_e32 v61, s9
	v_add_co_u32_e32 v44, vcc, s8, v50
	v_addc_co_u32_e32 v50, vcc, v61, v51, vcc
	v_add_co_u32_e32 v58, vcc, 0x2120, v44
	v_addc_co_u32_e32 v59, vcc, 0, v50, vcc
	v_add_co_u32_e32 v64, vcc, 0x2000, v44
	v_addc_co_u32_e32 v65, vcc, 0, v50, vcc
	v_lshlrev_b32_e32 v44, 1, v78
	global_load_dwordx4 v[50:53], v[64:65], off offset:288
	global_load_dwordx4 v[54:57], v[58:59], off offset:16
	v_lshlrev_b64 v[58:59], 4, v[44:45]
	s_movk_i32 s2, 0x2120
	v_add_co_u32_e32 v44, vcc, s8, v58
	v_addc_co_u32_e32 v64, vcc, v61, v59, vcc
	v_add_co_u32_e32 v58, vcc, s2, v44
	s_movk_i32 s6, 0x2000
	v_addc_co_u32_e32 v59, vcc, 0, v64, vcc
	v_add_co_u32_e32 v72, vcc, s6, v44
	v_addc_co_u32_e32 v73, vcc, 0, v64, vcc
	v_lshlrev_b32_e32 v44, 1, v60
	global_load_dwordx4 v[64:67], v[72:73], off offset:288
	global_load_dwordx4 v[68:71], v[58:59], off offset:16
	v_lshlrev_b64 v[58:59], 4, v[44:45]
	s_mov_b32 s5, 0xbfebb67a
	v_add_co_u32_e32 v44, vcc, s8, v58
	v_addc_co_u32_e32 v61, vcc, v61, v59, vcc
	v_add_co_u32_e32 v58, vcc, s2, v44
	v_addc_co_u32_e32 v59, vcc, 0, v61, vcc
	;; [unrolled: 2-line block ×3, first 2 shown]
	global_load_dwordx4 v[72:75], v[82:83], off offset:288
	global_load_dwordx4 v[78:81], v[58:59], off offset:16
	s_mov_b32 s2, 0xe8584caa
	s_mov_b32 s3, 0x3febb67a
	;; [unrolled: 1-line block ×3, first 2 shown]
	v_mov_b32_e32 v61, v45
	s_movk_i32 s7, 0x4000
	s_waitcnt vmcnt(5) lgkmcnt(1)
	v_mul_f64 v[84:85], v[30:31], v[52:53]
	s_waitcnt vmcnt(4) lgkmcnt(0)
	v_mul_f64 v[86:87], v[48:49], v[56:57]
	v_mul_f64 v[52:53], v[14:15], v[52:53]
	;; [unrolled: 1-line block ×3, first 2 shown]
	v_fma_f64 v[14:15], v[14:15], v[50:51], -v[84:85]
	v_fma_f64 v[46:47], v[46:47], v[54:55], -v[86:87]
	v_fma_f64 v[30:31], v[30:31], v[50:51], v[52:53]
	v_fma_f64 v[48:49], v[48:49], v[54:55], v[56:57]
	s_waitcnt vmcnt(3)
	v_mul_f64 v[58:59], v[28:29], v[66:67]
	s_waitcnt vmcnt(2)
	v_mul_f64 v[82:83], v[26:27], v[70:71]
	v_mul_f64 v[66:67], v[12:13], v[66:67]
	;; [unrolled: 1-line block ×3, first 2 shown]
	v_fma_f64 v[12:13], v[12:13], v[64:65], -v[58:59]
	v_fma_f64 v[10:11], v[10:11], v[68:69], -v[82:83]
	v_fma_f64 v[28:29], v[28:29], v[64:65], v[66:67]
	v_fma_f64 v[26:27], v[26:27], v[68:69], v[70:71]
	v_add_f64 v[58:59], v[14:15], -v[46:47]
	v_add_f64 v[66:67], v[20:21], v[30:31]
	v_add_f64 v[68:69], v[14:15], v[46:47]
	s_waitcnt vmcnt(1)
	v_mul_f64 v[88:89], v[22:23], v[74:75]
	s_waitcnt vmcnt(0)
	v_mul_f64 v[90:91], v[24:25], v[80:81]
	v_mul_f64 v[74:75], v[6:7], v[74:75]
	v_mul_f64 v[80:81], v[8:9], v[80:81]
	v_add_f64 v[56:57], v[12:13], v[10:11]
	v_add_f64 v[14:15], v[4:5], v[14:15]
	v_add_f64 v[54:55], v[18:19], v[28:29]
	v_add_f64 v[64:65], v[30:31], v[48:49]
	v_fma_f64 v[6:7], v[6:7], v[72:73], -v[88:89]
	v_fma_f64 v[50:51], v[8:9], v[78:79], -v[90:91]
	v_fma_f64 v[8:9], v[22:23], v[72:73], v[74:75]
	v_fma_f64 v[52:53], v[24:25], v[78:79], v[80:81]
	v_add_f64 v[22:23], v[12:13], -v[10:11]
	v_add_f64 v[24:25], v[28:29], v[26:27]
	v_add_f64 v[12:13], v[2:3], v[12:13]
	v_add_f64 v[28:29], v[28:29], -v[26:27]
	v_add_f64 v[30:31], v[30:31], -v[48:49]
	v_add_f64 v[78:79], v[6:7], v[50:51]
	v_add_f64 v[70:71], v[6:7], -v[50:51]
	v_add_f64 v[72:73], v[8:9], v[52:53]
	;; [unrolled: 2-line block ×3, first 2 shown]
	v_fma_f64 v[18:19], v[24:25], -0.5, v[18:19]
	v_fma_f64 v[24:25], v[56:57], -0.5, v[2:3]
	v_add_f64 v[6:7], v[12:13], v[10:11]
	v_add_f64 v[12:13], v[66:67], v[48:49]
	v_fma_f64 v[48:49], v[68:69], -0.5, v[4:5]
	v_add_f64 v[10:11], v[14:15], v[46:47]
	v_fma_f64 v[46:47], v[72:73], -0.5, v[16:17]
	v_fma_f64 v[0:1], v[78:79], -0.5, v[0:1]
	v_add_f64 v[74:75], v[16:17], v[8:9]
	v_add_f64 v[8:9], v[54:55], v[26:27]
	v_fma_f64 v[26:27], v[64:65], -0.5, v[20:21]
	v_fma_f64 v[4:5], v[22:23], s[2:3], v[18:19]
	v_fma_f64 v[16:17], v[22:23], s[4:5], v[18:19]
	;; [unrolled: 1-line block ×12, first 2 shown]
	v_mov_b32_e32 v0, s13
	v_add_co_u32_e32 v54, vcc, s12, v62
	v_addc_co_u32_e32 v55, vcc, v0, v63, vcc
	v_lshlrev_b64 v[0:1], 4, v[60:61]
	v_add_f64 v[52:53], v[74:75], v[52:53]
	v_add_co_u32_e32 v0, vcc, v54, v0
	v_addc_co_u32_e32 v1, vcc, v55, v1, vcc
	v_add_f64 v[50:51], v[82:83], v[50:51]
	v_add_co_u32_e32 v30, vcc, s6, v0
	v_addc_co_u32_e32 v31, vcc, 0, v1, vcc
	global_store_dwordx4 v[30:31], v[46:49], off offset:448
	global_store_dwordx4 v[0:1], v[50:53], off
	v_add_co_u32_e32 v46, vcc, s7, v0
	v_addc_co_u32_e32 v47, vcc, 0, v1, vcc
	s_mov_b32 s7, 0xf2b9d649
	global_store_dwordx4 v[46:47], v[26:29], off offset:896
	global_store_dwordx4 v[0:1], v[6:9], off offset:2592
	;; [unrolled: 1-line block ×4, first 2 shown]
	v_mul_hi_u32 v26, v77, s7
	s_movk_i32 s7, 0x438
	v_lshrrev_b32_e32 v2, 9, v26
	v_mad_u32_u24 v44, v2, s7, v77
	v_lshlrev_b64 v[2:3], 4, v[44:45]
	v_add_co_u32_e32 v2, vcc, v54, v2
	v_addc_co_u32_e32 v3, vcc, v55, v3, vcc
	v_add_co_u32_e32 v4, vcc, 0x2000, v2
	v_addc_co_u32_e32 v5, vcc, 0, v3, vcc
	global_store_dwordx4 v[2:3], v[10:13], off
	v_add_co_u32_e32 v2, vcc, 0x4000, v2
	v_addc_co_u32_e32 v3, vcc, 0, v3, vcc
	global_store_dwordx4 v[4:5], v[22:25], off offset:448
	global_store_dwordx4 v[2:3], v[18:21], off offset:896
	s_and_b64 exec, exec, s[0:1]
	s_cbranch_execz .LBB0_42
; %bb.41:
	v_subrev_u32_e32 v2, 54, v60
	v_cndmask_b32_e64 v2, v2, v76, s[0:1]
	v_lshlrev_b32_e32 v44, 1, v2
	v_lshlrev_b64 v[2:3], 4, v[44:45]
	v_mov_b32_e32 v4, s9
	v_add_co_u32_e32 v2, vcc, s8, v2
	v_addc_co_u32_e32 v3, vcc, v4, v3, vcc
	v_add_co_u32_e32 v10, vcc, 0x2120, v2
	v_addc_co_u32_e32 v11, vcc, 0, v3, vcc
	v_add_co_u32_e32 v12, vcc, s6, v2
	v_addc_co_u32_e32 v13, vcc, 0, v3, vcc
	global_load_dwordx4 v[2:5], v[12:13], off offset:288
	global_load_dwordx4 v[6:9], v[10:11], off offset:16
	v_add_co_u32_e32 v14, vcc, 0x1000, v0
	v_addc_co_u32_e32 v15, vcc, 0, v1, vcc
	v_add_co_u32_e32 v16, vcc, 0x4000, v0
	v_addc_co_u32_e32 v17, vcc, 0, v1, vcc
	;; [unrolled: 2-line block ×3, first 2 shown]
	s_waitcnt vmcnt(1)
	v_mul_f64 v[10:11], v[40:41], v[4:5]
	s_waitcnt vmcnt(0)
	v_mul_f64 v[12:13], v[42:43], v[8:9]
	v_mul_f64 v[4:5], v[34:35], v[4:5]
	;; [unrolled: 1-line block ×3, first 2 shown]
	v_fma_f64 v[10:11], v[34:35], v[2:3], -v[10:11]
	v_fma_f64 v[12:13], v[36:37], v[6:7], -v[12:13]
	v_fma_f64 v[2:3], v[40:41], v[2:3], v[4:5]
	v_fma_f64 v[4:5], v[42:43], v[6:7], v[8:9]
	v_add_f64 v[18:19], v[32:33], v[10:11]
	v_add_f64 v[6:7], v[10:11], v[12:13]
	;; [unrolled: 1-line block ×4, first 2 shown]
	v_add_f64 v[20:21], v[2:3], -v[4:5]
	v_add_f64 v[26:27], v[10:11], -v[12:13]
	v_add_f64 v[2:3], v[18:19], v[12:13]
	v_fma_f64 v[24:25], v[6:7], -0.5, v[32:33]
	v_add_f64 v[4:5], v[22:23], v[4:5]
	v_fma_f64 v[28:29], v[8:9], -0.5, v[38:39]
	v_fma_f64 v[6:7], v[20:21], s[2:3], v[24:25]
	v_fma_f64 v[10:11], v[20:21], s[4:5], v[24:25]
	;; [unrolled: 1-line block ×4, first 2 shown]
	global_store_dwordx4 v[14:15], v[2:5], off offset:3680
	global_store_dwordx4 v[16:17], v[6:9], off offset:32
	;; [unrolled: 1-line block ×3, first 2 shown]
.LBB0_42:
	s_endpgm
	.section	.rodata,"a",@progbits
	.p2align	6, 0x0
	.amdhsa_kernel fft_rtc_fwd_len1620_factors_10_3_3_6_3_wgs_162_tpt_162_halfLds_dp_ip_CI_unitstride_sbrr_dirReg
		.amdhsa_group_segment_fixed_size 0
		.amdhsa_private_segment_fixed_size 0
		.amdhsa_kernarg_size 88
		.amdhsa_user_sgpr_count 6
		.amdhsa_user_sgpr_private_segment_buffer 1
		.amdhsa_user_sgpr_dispatch_ptr 0
		.amdhsa_user_sgpr_queue_ptr 0
		.amdhsa_user_sgpr_kernarg_segment_ptr 1
		.amdhsa_user_sgpr_dispatch_id 0
		.amdhsa_user_sgpr_flat_scratch_init 0
		.amdhsa_user_sgpr_private_segment_size 0
		.amdhsa_uses_dynamic_stack 0
		.amdhsa_system_sgpr_private_segment_wavefront_offset 0
		.amdhsa_system_sgpr_workgroup_id_x 1
		.amdhsa_system_sgpr_workgroup_id_y 0
		.amdhsa_system_sgpr_workgroup_id_z 0
		.amdhsa_system_sgpr_workgroup_info 0
		.amdhsa_system_vgpr_workitem_id 0
		.amdhsa_next_free_vgpr 121
		.amdhsa_next_free_sgpr 22
		.amdhsa_reserve_vcc 1
		.amdhsa_reserve_flat_scratch 0
		.amdhsa_float_round_mode_32 0
		.amdhsa_float_round_mode_16_64 0
		.amdhsa_float_denorm_mode_32 3
		.amdhsa_float_denorm_mode_16_64 3
		.amdhsa_dx10_clamp 1
		.amdhsa_ieee_mode 1
		.amdhsa_fp16_overflow 0
		.amdhsa_exception_fp_ieee_invalid_op 0
		.amdhsa_exception_fp_denorm_src 0
		.amdhsa_exception_fp_ieee_div_zero 0
		.amdhsa_exception_fp_ieee_overflow 0
		.amdhsa_exception_fp_ieee_underflow 0
		.amdhsa_exception_fp_ieee_inexact 0
		.amdhsa_exception_int_div_zero 0
	.end_amdhsa_kernel
	.text
.Lfunc_end0:
	.size	fft_rtc_fwd_len1620_factors_10_3_3_6_3_wgs_162_tpt_162_halfLds_dp_ip_CI_unitstride_sbrr_dirReg, .Lfunc_end0-fft_rtc_fwd_len1620_factors_10_3_3_6_3_wgs_162_tpt_162_halfLds_dp_ip_CI_unitstride_sbrr_dirReg
                                        ; -- End function
	.section	.AMDGPU.csdata,"",@progbits
; Kernel info:
; codeLenInByte = 8988
; NumSgprs: 26
; NumVgprs: 121
; ScratchSize: 0
; MemoryBound: 1
; FloatMode: 240
; IeeeMode: 1
; LDSByteSize: 0 bytes/workgroup (compile time only)
; SGPRBlocks: 3
; VGPRBlocks: 30
; NumSGPRsForWavesPerEU: 26
; NumVGPRsForWavesPerEU: 121
; Occupancy: 2
; WaveLimiterHint : 1
; COMPUTE_PGM_RSRC2:SCRATCH_EN: 0
; COMPUTE_PGM_RSRC2:USER_SGPR: 6
; COMPUTE_PGM_RSRC2:TRAP_HANDLER: 0
; COMPUTE_PGM_RSRC2:TGID_X_EN: 1
; COMPUTE_PGM_RSRC2:TGID_Y_EN: 0
; COMPUTE_PGM_RSRC2:TGID_Z_EN: 0
; COMPUTE_PGM_RSRC2:TIDIG_COMP_CNT: 0
	.type	__hip_cuid_562add8472b0e9e5,@object ; @__hip_cuid_562add8472b0e9e5
	.section	.bss,"aw",@nobits
	.globl	__hip_cuid_562add8472b0e9e5
__hip_cuid_562add8472b0e9e5:
	.byte	0                               ; 0x0
	.size	__hip_cuid_562add8472b0e9e5, 1

	.ident	"AMD clang version 19.0.0git (https://github.com/RadeonOpenCompute/llvm-project roc-6.4.0 25133 c7fe45cf4b819c5991fe208aaa96edf142730f1d)"
	.section	".note.GNU-stack","",@progbits
	.addrsig
	.addrsig_sym __hip_cuid_562add8472b0e9e5
	.amdgpu_metadata
---
amdhsa.kernels:
  - .args:
      - .actual_access:  read_only
        .address_space:  global
        .offset:         0
        .size:           8
        .value_kind:     global_buffer
      - .offset:         8
        .size:           8
        .value_kind:     by_value
      - .actual_access:  read_only
        .address_space:  global
        .offset:         16
        .size:           8
        .value_kind:     global_buffer
      - .actual_access:  read_only
        .address_space:  global
        .offset:         24
        .size:           8
        .value_kind:     global_buffer
      - .offset:         32
        .size:           8
        .value_kind:     by_value
      - .actual_access:  read_only
        .address_space:  global
        .offset:         40
        .size:           8
        .value_kind:     global_buffer
      - .actual_access:  read_only
        .address_space:  global
        .offset:         48
        .size:           8
        .value_kind:     global_buffer
      - .offset:         56
        .size:           4
        .value_kind:     by_value
      - .actual_access:  read_only
        .address_space:  global
        .offset:         64
        .size:           8
        .value_kind:     global_buffer
      - .actual_access:  read_only
        .address_space:  global
        .offset:         72
        .size:           8
        .value_kind:     global_buffer
      - .address_space:  global
        .offset:         80
        .size:           8
        .value_kind:     global_buffer
    .group_segment_fixed_size: 0
    .kernarg_segment_align: 8
    .kernarg_segment_size: 88
    .language:       OpenCL C
    .language_version:
      - 2
      - 0
    .max_flat_workgroup_size: 162
    .name:           fft_rtc_fwd_len1620_factors_10_3_3_6_3_wgs_162_tpt_162_halfLds_dp_ip_CI_unitstride_sbrr_dirReg
    .private_segment_fixed_size: 0
    .sgpr_count:     26
    .sgpr_spill_count: 0
    .symbol:         fft_rtc_fwd_len1620_factors_10_3_3_6_3_wgs_162_tpt_162_halfLds_dp_ip_CI_unitstride_sbrr_dirReg.kd
    .uniform_work_group_size: 1
    .uses_dynamic_stack: false
    .vgpr_count:     121
    .vgpr_spill_count: 0
    .wavefront_size: 64
amdhsa.target:   amdgcn-amd-amdhsa--gfx906
amdhsa.version:
  - 1
  - 2
...

	.end_amdgpu_metadata
